;; amdgpu-corpus repo=ROCm/rocFFT kind=compiled arch=gfx1030 opt=O3
	.text
	.amdgcn_target "amdgcn-amd-amdhsa--gfx1030"
	.amdhsa_code_object_version 6
	.protected	fft_rtc_back_len1250_factors_5_10_5_5_wgs_250_tpt_250_halfLds_half_ip_CI_unitstride_sbrr_C2R_dirReg ; -- Begin function fft_rtc_back_len1250_factors_5_10_5_5_wgs_250_tpt_250_halfLds_half_ip_CI_unitstride_sbrr_C2R_dirReg
	.globl	fft_rtc_back_len1250_factors_5_10_5_5_wgs_250_tpt_250_halfLds_half_ip_CI_unitstride_sbrr_C2R_dirReg
	.p2align	8
	.type	fft_rtc_back_len1250_factors_5_10_5_5_wgs_250_tpt_250_halfLds_half_ip_CI_unitstride_sbrr_C2R_dirReg,@function
fft_rtc_back_len1250_factors_5_10_5_5_wgs_250_tpt_250_halfLds_half_ip_CI_unitstride_sbrr_C2R_dirReg: ; @fft_rtc_back_len1250_factors_5_10_5_5_wgs_250_tpt_250_halfLds_half_ip_CI_unitstride_sbrr_C2R_dirReg
; %bb.0:
	s_clause 0x2
	s_load_dwordx4 s[8:11], s[4:5], 0x0
	s_load_dwordx2 s[2:3], s[4:5], 0x50
	s_load_dwordx2 s[12:13], s[4:5], 0x18
	v_mul_u32_u24_e32 v1, 0x107, v0
	v_mov_b32_e32 v3, 0
	v_add_nc_u32_sdwa v5, s6, v1 dst_sel:DWORD dst_unused:UNUSED_PAD src0_sel:DWORD src1_sel:WORD_1
	v_mov_b32_e32 v1, 0
	v_mov_b32_e32 v6, v3
	v_mov_b32_e32 v2, 0
	s_waitcnt lgkmcnt(0)
	v_cmp_lt_u64_e64 s0, s[10:11], 2
	s_and_b32 vcc_lo, exec_lo, s0
	s_cbranch_vccnz .LBB0_8
; %bb.1:
	s_load_dwordx2 s[0:1], s[4:5], 0x10
	v_mov_b32_e32 v1, 0
	s_add_u32 s6, s12, 8
	v_mov_b32_e32 v2, 0
	s_addc_u32 s7, s13, 0
	s_mov_b64 s[16:17], 1
	s_waitcnt lgkmcnt(0)
	s_add_u32 s14, s0, 8
	s_addc_u32 s15, s1, 0
.LBB0_2:                                ; =>This Inner Loop Header: Depth=1
	s_load_dwordx2 s[18:19], s[14:15], 0x0
                                        ; implicit-def: $vgpr7_vgpr8
	s_mov_b32 s0, exec_lo
	s_waitcnt lgkmcnt(0)
	v_or_b32_e32 v4, s19, v6
	v_cmpx_ne_u64_e32 0, v[3:4]
	s_xor_b32 s1, exec_lo, s0
	s_cbranch_execz .LBB0_4
; %bb.3:                                ;   in Loop: Header=BB0_2 Depth=1
	v_cvt_f32_u32_e32 v4, s18
	v_cvt_f32_u32_e32 v7, s19
	s_sub_u32 s0, 0, s18
	s_subb_u32 s20, 0, s19
	v_fmac_f32_e32 v4, 0x4f800000, v7
	v_rcp_f32_e32 v4, v4
	v_mul_f32_e32 v4, 0x5f7ffffc, v4
	v_mul_f32_e32 v7, 0x2f800000, v4
	v_trunc_f32_e32 v7, v7
	v_fmac_f32_e32 v4, 0xcf800000, v7
	v_cvt_u32_f32_e32 v7, v7
	v_cvt_u32_f32_e32 v4, v4
	v_mul_lo_u32 v8, s0, v7
	v_mul_hi_u32 v9, s0, v4
	v_mul_lo_u32 v10, s20, v4
	v_add_nc_u32_e32 v8, v9, v8
	v_mul_lo_u32 v9, s0, v4
	v_add_nc_u32_e32 v8, v8, v10
	v_mul_hi_u32 v10, v4, v9
	v_mul_lo_u32 v11, v4, v8
	v_mul_hi_u32 v12, v4, v8
	v_mul_hi_u32 v13, v7, v9
	v_mul_lo_u32 v9, v7, v9
	v_mul_hi_u32 v14, v7, v8
	v_mul_lo_u32 v8, v7, v8
	v_add_co_u32 v10, vcc_lo, v10, v11
	v_add_co_ci_u32_e32 v11, vcc_lo, 0, v12, vcc_lo
	v_add_co_u32 v9, vcc_lo, v10, v9
	v_add_co_ci_u32_e32 v9, vcc_lo, v11, v13, vcc_lo
	v_add_co_ci_u32_e32 v10, vcc_lo, 0, v14, vcc_lo
	v_add_co_u32 v8, vcc_lo, v9, v8
	v_add_co_ci_u32_e32 v9, vcc_lo, 0, v10, vcc_lo
	v_add_co_u32 v4, vcc_lo, v4, v8
	v_add_co_ci_u32_e32 v7, vcc_lo, v7, v9, vcc_lo
	v_mul_hi_u32 v8, s0, v4
	v_mul_lo_u32 v10, s20, v4
	v_mul_lo_u32 v9, s0, v7
	v_add_nc_u32_e32 v8, v8, v9
	v_mul_lo_u32 v9, s0, v4
	v_add_nc_u32_e32 v8, v8, v10
	v_mul_hi_u32 v10, v4, v9
	v_mul_lo_u32 v11, v4, v8
	v_mul_hi_u32 v12, v4, v8
	v_mul_hi_u32 v13, v7, v9
	v_mul_lo_u32 v9, v7, v9
	v_mul_hi_u32 v14, v7, v8
	v_mul_lo_u32 v8, v7, v8
	v_add_co_u32 v10, vcc_lo, v10, v11
	v_add_co_ci_u32_e32 v11, vcc_lo, 0, v12, vcc_lo
	v_add_co_u32 v9, vcc_lo, v10, v9
	v_add_co_ci_u32_e32 v9, vcc_lo, v11, v13, vcc_lo
	v_add_co_ci_u32_e32 v10, vcc_lo, 0, v14, vcc_lo
	v_add_co_u32 v8, vcc_lo, v9, v8
	v_add_co_ci_u32_e32 v9, vcc_lo, 0, v10, vcc_lo
	v_add_co_u32 v4, vcc_lo, v4, v8
	v_add_co_ci_u32_e32 v11, vcc_lo, v7, v9, vcc_lo
	v_mul_hi_u32 v13, v5, v4
	v_mad_u64_u32 v[9:10], null, v6, v4, 0
	v_mad_u64_u32 v[7:8], null, v5, v11, 0
	;; [unrolled: 1-line block ×3, first 2 shown]
	v_add_co_u32 v4, vcc_lo, v13, v7
	v_add_co_ci_u32_e32 v7, vcc_lo, 0, v8, vcc_lo
	v_add_co_u32 v4, vcc_lo, v4, v9
	v_add_co_ci_u32_e32 v4, vcc_lo, v7, v10, vcc_lo
	v_add_co_ci_u32_e32 v7, vcc_lo, 0, v12, vcc_lo
	v_add_co_u32 v4, vcc_lo, v4, v11
	v_add_co_ci_u32_e32 v9, vcc_lo, 0, v7, vcc_lo
	v_mul_lo_u32 v10, s19, v4
	v_mad_u64_u32 v[7:8], null, s18, v4, 0
	v_mul_lo_u32 v11, s18, v9
	v_sub_co_u32 v7, vcc_lo, v5, v7
	v_add3_u32 v8, v8, v11, v10
	v_sub_nc_u32_e32 v10, v6, v8
	v_subrev_co_ci_u32_e64 v10, s0, s19, v10, vcc_lo
	v_add_co_u32 v11, s0, v4, 2
	v_add_co_ci_u32_e64 v12, s0, 0, v9, s0
	v_sub_co_u32 v13, s0, v7, s18
	v_sub_co_ci_u32_e32 v8, vcc_lo, v6, v8, vcc_lo
	v_subrev_co_ci_u32_e64 v10, s0, 0, v10, s0
	v_cmp_le_u32_e32 vcc_lo, s18, v13
	v_cmp_eq_u32_e64 s0, s19, v8
	v_cndmask_b32_e64 v13, 0, -1, vcc_lo
	v_cmp_le_u32_e32 vcc_lo, s19, v10
	v_cndmask_b32_e64 v14, 0, -1, vcc_lo
	v_cmp_le_u32_e32 vcc_lo, s18, v7
	;; [unrolled: 2-line block ×3, first 2 shown]
	v_cndmask_b32_e64 v15, 0, -1, vcc_lo
	v_cmp_eq_u32_e32 vcc_lo, s19, v10
	v_cndmask_b32_e64 v7, v15, v7, s0
	v_cndmask_b32_e32 v10, v14, v13, vcc_lo
	v_add_co_u32 v13, vcc_lo, v4, 1
	v_add_co_ci_u32_e32 v14, vcc_lo, 0, v9, vcc_lo
	v_cmp_ne_u32_e32 vcc_lo, 0, v10
	v_cndmask_b32_e32 v8, v14, v12, vcc_lo
	v_cndmask_b32_e32 v10, v13, v11, vcc_lo
	v_cmp_ne_u32_e32 vcc_lo, 0, v7
	v_cndmask_b32_e32 v8, v9, v8, vcc_lo
	v_cndmask_b32_e32 v7, v4, v10, vcc_lo
.LBB0_4:                                ;   in Loop: Header=BB0_2 Depth=1
	s_andn2_saveexec_b32 s0, s1
	s_cbranch_execz .LBB0_6
; %bb.5:                                ;   in Loop: Header=BB0_2 Depth=1
	v_cvt_f32_u32_e32 v4, s18
	s_sub_i32 s1, 0, s18
	v_rcp_iflag_f32_e32 v4, v4
	v_mul_f32_e32 v4, 0x4f7ffffe, v4
	v_cvt_u32_f32_e32 v4, v4
	v_mul_lo_u32 v7, s1, v4
	v_mul_hi_u32 v7, v4, v7
	v_add_nc_u32_e32 v4, v4, v7
	v_mul_hi_u32 v4, v5, v4
	v_mul_lo_u32 v7, v4, s18
	v_add_nc_u32_e32 v8, 1, v4
	v_sub_nc_u32_e32 v7, v5, v7
	v_subrev_nc_u32_e32 v9, s18, v7
	v_cmp_le_u32_e32 vcc_lo, s18, v7
	v_cndmask_b32_e32 v7, v7, v9, vcc_lo
	v_cndmask_b32_e32 v4, v4, v8, vcc_lo
	v_cmp_le_u32_e32 vcc_lo, s18, v7
	v_add_nc_u32_e32 v8, 1, v4
	v_cndmask_b32_e32 v7, v4, v8, vcc_lo
	v_mov_b32_e32 v8, v3
.LBB0_6:                                ;   in Loop: Header=BB0_2 Depth=1
	s_or_b32 exec_lo, exec_lo, s0
	s_load_dwordx2 s[0:1], s[6:7], 0x0
	v_mul_lo_u32 v4, v8, s18
	v_mul_lo_u32 v11, v7, s19
	v_mad_u64_u32 v[9:10], null, v7, s18, 0
	s_add_u32 s16, s16, 1
	s_addc_u32 s17, s17, 0
	s_add_u32 s6, s6, 8
	s_addc_u32 s7, s7, 0
	;; [unrolled: 2-line block ×3, first 2 shown]
	v_add3_u32 v4, v10, v11, v4
	v_sub_co_u32 v5, vcc_lo, v5, v9
	v_sub_co_ci_u32_e32 v4, vcc_lo, v6, v4, vcc_lo
	s_waitcnt lgkmcnt(0)
	v_mul_lo_u32 v6, s1, v5
	v_mul_lo_u32 v4, s0, v4
	v_mad_u64_u32 v[1:2], null, s0, v5, v[1:2]
	v_cmp_ge_u64_e64 s0, s[16:17], s[10:11]
	s_and_b32 vcc_lo, exec_lo, s0
	v_add3_u32 v2, v6, v2, v4
	s_cbranch_vccnz .LBB0_9
; %bb.7:                                ;   in Loop: Header=BB0_2 Depth=1
	v_mov_b32_e32 v5, v7
	v_mov_b32_e32 v6, v8
	s_branch .LBB0_2
.LBB0_8:
	v_mov_b32_e32 v8, v6
	v_mov_b32_e32 v7, v5
.LBB0_9:
	s_lshl_b64 s[0:1], s[10:11], 3
	v_mul_hi_u32 v5, 0x10624de, v0
	s_add_u32 s0, s12, s0
	s_addc_u32 s1, s13, s1
	s_load_dwordx2 s[0:1], s[0:1], 0x0
	s_load_dwordx2 s[4:5], s[4:5], 0x20
	s_waitcnt lgkmcnt(0)
	v_mul_lo_u32 v3, s0, v8
	v_mul_lo_u32 v4, s1, v7
	v_mad_u64_u32 v[1:2], null, s0, v7, v[1:2]
	v_cmp_gt_u64_e32 vcc_lo, s[4:5], v[7:8]
	v_add3_u32 v2, v4, v2, v3
	v_mul_u32_u24_e32 v4, 0xfa, v5
	v_lshlrev_b64 v[2:3], 2, v[1:2]
	v_sub_nc_u32_e32 v0, v0, v4
	s_and_saveexec_b32 s1, vcc_lo
	s_cbranch_execz .LBB0_13
; %bb.10:
	v_mov_b32_e32 v1, 0
	v_add_co_u32 v4, s0, s2, v2
	v_add_co_ci_u32_e64 v5, s0, s3, v3, s0
	v_lshlrev_b64 v[6:7], 2, v[0:1]
	s_mov_b32 s4, exec_lo
	v_add_co_u32 v6, s0, v4, v6
	v_add_co_ci_u32_e64 v7, s0, v5, v7, s0
	v_add_co_u32 v8, s0, 0x800, v6
	v_add_co_ci_u32_e64 v9, s0, 0, v7, s0
	s_clause 0x4
	global_load_dword v10, v[6:7], off
	global_load_dword v11, v[6:7], off offset:1000
	global_load_dword v6, v[6:7], off offset:2000
	;; [unrolled: 1-line block ×4, first 2 shown]
	v_lshl_add_u32 v9, v0, 2, 0
	v_add_nc_u32_e32 v12, 0x7c0, v9
	s_waitcnt vmcnt(3)
	ds_write2_b32 v9, v10, v11 offset1:250
	s_waitcnt vmcnt(1)
	ds_write2_b32 v12, v6, v7 offset0:4 offset1:254
	s_waitcnt vmcnt(0)
	ds_write_b32 v9, v8 offset:4000
	v_cmpx_eq_u32_e32 0xf9, v0
	s_cbranch_execz .LBB0_12
; %bb.11:
	v_add_co_u32 v4, s0, 0x1000, v4
	v_add_co_ci_u32_e64 v5, s0, 0, v5, s0
	v_mov_b32_e32 v0, 0xf9
	global_load_dword v4, v[4:5], off offset:904
	s_waitcnt vmcnt(0)
	ds_write_b32 v1, v4 offset:5000
.LBB0_12:
	s_or_b32 exec_lo, exec_lo, s4
.LBB0_13:
	s_or_b32 exec_lo, exec_lo, s1
	v_lshlrev_b32_e32 v4, 2, v0
	s_waitcnt lgkmcnt(0)
	s_barrier
	buffer_gl0_inv
	s_add_u32 s1, s8, 0x1374
	v_add_nc_u32_e32 v15, 0, v4
	v_sub_nc_u32_e32 v7, 0, v4
	s_addc_u32 s4, s9, 0
	s_mov_b32 s5, exec_lo
	ds_read_u16 v1, v15
	ds_read_u16 v5, v7 offset:5000
	s_waitcnt lgkmcnt(0)
	v_add_f16_e32 v9, v5, v1
	v_sub_f16_e32 v8, v1, v5
                                        ; implicit-def: $vgpr5_vgpr6
	v_cmpx_ne_u32_e32 0, v0
	s_xor_b32 s5, exec_lo, s5
	s_cbranch_execz .LBB0_15
; %bb.14:
	v_mov_b32_e32 v1, 0
	v_lshlrev_b64 v[5:6], 2, v[0:1]
	v_add_co_u32 v5, s0, s1, v5
	v_add_co_ci_u32_e64 v6, s0, s4, v6, s0
	global_load_dword v5, v[5:6], off
	ds_read_u16 v6, v7 offset:5002
	ds_read_u16 v10, v15 offset:2
	s_waitcnt lgkmcnt(0)
	v_add_f16_e32 v11, v6, v10
	v_sub_f16_e32 v6, v10, v6
	s_waitcnt vmcnt(0)
	v_lshrrev_b32_e32 v12, 16, v5
	v_fma_f16 v10, v8, v12, v9
	v_fma_f16 v13, v11, v12, v6
	v_fma_f16 v9, -v8, v12, v9
	v_fma_f16 v6, v11, v12, -v6
	v_fma_f16 v10, -v5, v11, v10
	v_fmac_f16_e32 v13, v8, v5
	v_fmac_f16_e32 v9, v5, v11
	;; [unrolled: 1-line block ×3, first 2 shown]
	v_pack_b32_f16 v8, v10, v13
	v_pack_b32_f16 v9, v9, v6
	v_mov_b32_e32 v6, v1
	v_mov_b32_e32 v5, v0
	ds_write_b32 v15, v8
	ds_write_b32 v7, v9 offset:5000
                                        ; implicit-def: $vgpr9
                                        ; implicit-def: $vgpr8
.LBB0_15:
	s_andn2_saveexec_b32 s0, s5
	s_cbranch_execz .LBB0_17
; %bb.16:
	v_pack_b32_f16 v1, v9, v8
	v_mov_b32_e32 v8, 0
	v_mov_b32_e32 v5, 0
	;; [unrolled: 1-line block ×3, first 2 shown]
	ds_write_b32 v15, v1
	ds_read_b32 v1, v8 offset:2500
	s_waitcnt lgkmcnt(0)
	v_pk_mul_f16 v1, 0xc0004000, v1
	ds_write_b32 v8, v1 offset:2500
.LBB0_17:
	s_or_b32 exec_lo, exec_lo, s0
	v_lshlrev_b64 v[5:6], 2, v[5:6]
	v_add_co_u32 v5, s0, s1, v5
	v_add_co_ci_u32_e64 v6, s0, s4, v6, s0
	v_cmp_gt_u32_e64 s0, 0x7d, v0
	global_load_dword v1, v[5:6], off offset:1000
	ds_read_b32 v8, v15 offset:1000
	ds_read_b32 v9, v7 offset:4000
	s_waitcnt lgkmcnt(0)
	v_add_f16_e32 v10, v8, v9
	v_add_f16_sdwa v11, v9, v8 dst_sel:DWORD dst_unused:UNUSED_PAD src0_sel:WORD_1 src1_sel:WORD_1
	v_sub_f16_e32 v12, v8, v9
	v_sub_f16_sdwa v8, v8, v9 dst_sel:DWORD dst_unused:UNUSED_PAD src0_sel:WORD_1 src1_sel:WORD_1
	s_waitcnt vmcnt(0)
	v_lshrrev_b32_e32 v13, 16, v1
	v_fma_f16 v9, v12, v13, v10
	v_fma_f16 v14, v11, v13, v8
	v_fma_f16 v10, -v12, v13, v10
	v_fma_f16 v8, v11, v13, -v8
	v_fma_f16 v9, -v1, v11, v9
	v_fmac_f16_e32 v14, v12, v1
	v_fmac_f16_e32 v10, v1, v11
	v_fmac_f16_e32 v8, v12, v1
	v_pack_b32_f16 v1, v9, v14
	v_pack_b32_f16 v8, v10, v8
	ds_write_b32 v15, v1 offset:1000
	ds_write_b32 v7, v8 offset:4000
	s_and_saveexec_b32 s1, s0
	s_cbranch_execz .LBB0_19
; %bb.18:
	global_load_dword v1, v[5:6], off offset:2000
	ds_read_b32 v5, v15 offset:2000
	ds_read_b32 v6, v7 offset:3000
	s_waitcnt lgkmcnt(0)
	v_add_f16_e32 v8, v5, v6
	v_add_f16_sdwa v9, v6, v5 dst_sel:DWORD dst_unused:UNUSED_PAD src0_sel:WORD_1 src1_sel:WORD_1
	v_sub_f16_e32 v10, v5, v6
	v_sub_f16_sdwa v5, v5, v6 dst_sel:DWORD dst_unused:UNUSED_PAD src0_sel:WORD_1 src1_sel:WORD_1
	s_waitcnt vmcnt(0)
	v_lshrrev_b32_e32 v11, 16, v1
	v_fma_f16 v6, v10, v11, v8
	v_fma_f16 v12, v9, v11, v5
	v_fma_f16 v8, -v10, v11, v8
	v_fma_f16 v5, v9, v11, -v5
	v_fma_f16 v6, -v1, v9, v6
	v_fmac_f16_e32 v12, v10, v1
	v_fmac_f16_e32 v8, v1, v9
	;; [unrolled: 1-line block ×3, first 2 shown]
	v_pack_b32_f16 v1, v6, v12
	v_pack_b32_f16 v5, v8, v5
	ds_write_b32 v15, v1 offset:2000
	ds_write_b32 v7, v5 offset:3000
.LBB0_19:
	s_or_b32 exec_lo, exec_lo, s1
	v_add_nc_u32_e32 v1, 0x7c0, v15
	s_waitcnt lgkmcnt(0)
	s_barrier
	buffer_gl0_inv
	s_barrier
	buffer_gl0_inv
	ds_read2_b32 v[5:6], v15 offset1:250
	ds_read_b32 v9, v15 offset:4000
	ds_read2_b32 v[7:8], v1 offset0:4 offset1:254
	v_lshl_add_u32 v1, v0, 4, v15
	s_waitcnt lgkmcnt(0)
	s_barrier
	buffer_gl0_inv
                                        ; implicit-def: $vgpr19
                                        ; implicit-def: $vgpr20
                                        ; implicit-def: $vgpr23
                                        ; implicit-def: $vgpr24
                                        ; implicit-def: $vgpr22
	v_pk_add_f16 v10, v5, v6
	v_pk_add_f16 v11, v6, v9
	v_pk_add_f16 v12, v6, v9 neg_lo:[0,1] neg_hi:[0,1]
	v_pk_add_f16 v17, v7, v8
	v_pk_add_f16 v13, v7, v8 neg_lo:[0,1] neg_hi:[0,1]
	v_pk_add_f16 v10, v10, v7
	v_pk_fma_f16 v11, v11, 0.5, v5 op_sel_hi:[1,0,1] neg_lo:[1,0,0] neg_hi:[1,0,0]
	v_pk_add_f16 v14, v7, v6 neg_lo:[0,1] neg_hi:[0,1]
	v_pk_add_f16 v16, v8, v9 neg_lo:[0,1] neg_hi:[0,1]
	v_pk_mul_f16 v18, 0x3b9c, v12 op_sel_hi:[0,1]
	v_pk_fma_f16 v5, v17, 0.5, v5 op_sel_hi:[1,0,1] neg_lo:[1,0,0] neg_hi:[1,0,0]
	v_pk_add_f16 v6, v6, v7 neg_lo:[0,1] neg_hi:[0,1]
	v_pk_add_f16 v7, v9, v8 neg_lo:[0,1] neg_hi:[0,1]
	v_pk_add_f16 v8, v10, v8
	v_pk_fma_f16 v10, 0x3b9c, v13, v11 op_sel:[0,0,1] op_sel_hi:[0,1,0]
	v_pk_add_f16 v14, v14, v16
	v_pk_fma_f16 v11, 0x3b9c, v13, v11 op_sel:[0,0,1] op_sel_hi:[0,1,0] neg_lo:[0,1,0] neg_hi:[0,1,0]
	v_pk_mul_f16 v13, 0x38b4, v13 op_sel_hi:[0,1]
	v_pk_add_f16 v16, v5, v18 op_sel:[0,1] op_sel_hi:[1,0] neg_lo:[0,1] neg_hi:[0,1]
	v_pk_add_f16 v5, v18, v5 op_sel:[1,0] op_sel_hi:[0,1]
	v_pk_fma_f16 v10, 0x38b4, v12, v10 op_sel_hi:[0,1,1] neg_lo:[0,1,0] neg_hi:[0,1,0]
	v_pk_fma_f16 v11, 0x38b4, v12, v11 op_sel_hi:[0,1,1]
	v_pk_add_f16 v12, v6, v7
	v_pk_add_f16 v7, v16, v13 op_sel:[0,1] op_sel_hi:[1,0] neg_lo:[0,1] neg_hi:[0,1]
	v_pk_add_f16 v13, v13, v5 op_sel:[1,0] op_sel_hi:[0,1]
	v_pk_mul_f16 v14, 0x34f2, v14 op_sel_hi:[0,1]
	v_pk_add_f16 v5, v8, v9
	v_pk_fma_f16 v6, 0x34f2, v12, v7 op_sel_hi:[0,1,1]
	v_bfi_b32 v8, 0xffff, v13, v7
	v_pk_add_f16 v16, v14, v10 op_sel:[1,0] op_sel_hi:[0,1]
	v_pk_add_f16 v18, v14, v11 op_sel:[1,0] op_sel_hi:[0,1]
	v_pk_fma_f16 v10, 0x34f2, v12, v13 op_sel_hi:[0,1,1]
	v_pk_fma_f16 v9, 0x34f2, v12, v8 op_sel_hi:[0,1,1]
	v_lshrrev_b32_e32 v7, 16, v16
	v_alignbit_b32 v11, v16, v18, 16
	v_alignbit_b32 v13, v18, v16, 16
	v_bfi_b32 v14, 0xffff, v6, v10
	v_lshrrev_b32_e32 v8, 16, v18
	v_lshrrev_b32_e32 v17, 16, v10
	;; [unrolled: 1-line block ×3, first 2 shown]
	ds_write2_b32 v1, v13, v11 offset0:2 offset1:3
	ds_write2_b32 v1, v5, v14 offset1:1
	ds_write_b32 v1, v9 offset:16
	s_waitcnt lgkmcnt(0)
	s_barrier
	buffer_gl0_inv
                                        ; implicit-def: $vgpr12
                                        ; implicit-def: $vgpr14
	s_and_saveexec_b32 s1, s0
	s_cbranch_execz .LBB0_21
; %bb.20:
	v_add_nc_u32_e32 v1, 0xe00, v15
	v_add_nc_u32_e32 v7, 0x200, v15
	;; [unrolled: 1-line block ×3, first 2 shown]
	ds_read2_b32 v[5:6], v15 offset1:125
	ds_read2_b32 v[11:12], v1 offset0:104 offset1:229
	v_add_nc_u32_e32 v1, 0xa00, v15
	ds_read2_b32 v[7:8], v7 offset0:122 offset1:247
	ds_read2_b32 v[9:10], v9 offset0:116 offset1:241
	;; [unrolled: 1-line block ×3, first 2 shown]
	s_waitcnt lgkmcnt(4)
	v_lshrrev_b32_e32 v17, 16, v6
	s_waitcnt lgkmcnt(3)
	v_lshrrev_b32_e32 v20, 16, v11
	v_lshrrev_b32_e32 v19, 16, v12
	s_waitcnt lgkmcnt(2)
	v_lshrrev_b32_e32 v18, 16, v7
	;; [unrolled: 3-line block ×4, first 2 shown]
	v_lshrrev_b32_e32 v23, 16, v14
.LBB0_21:
	s_or_b32 exec_lo, exec_lo, s1
	v_and_b32_e32 v1, 0xff, v0
	s_barrier
	buffer_gl0_inv
	s_and_saveexec_b32 s1, s0
	s_cbranch_execz .LBB0_23
; %bb.22:
	v_mul_lo_u16 v25, 0xcd, v1
	v_mov_b32_e32 v26, 9
	v_mov_b32_e32 v36, 0xc8
	;; [unrolled: 1-line block ×3, first 2 shown]
	v_lshrrev_b16 v33, 10, v25
	v_mul_lo_u16 v25, v33, 5
	v_mul_u32_u24_sdwa v33, v33, v36 dst_sel:DWORD dst_unused:UNUSED_PAD src0_sel:WORD_0 src1_sel:DWORD
	v_lshrrev_b32_e32 v36, 16, v5
	v_sub_nc_u16 v34, v0, v25
	v_mul_u32_u24_sdwa v25, v34, v26 dst_sel:DWORD dst_unused:UNUSED_PAD src0_sel:BYTE_0 src1_sel:DWORD
	v_lshlrev_b32_sdwa v34, v37, v34 dst_sel:DWORD dst_unused:UNUSED_PAD src0_sel:DWORD src1_sel:BYTE_0
	v_lshlrev_b32_e32 v35, 2, v25
	v_add3_u32 v33, 0, v33, v34
	s_clause 0x2
	global_load_dwordx4 v[25:28], v35, s[8:9]
	global_load_dwordx4 v[29:32], v35, s[8:9] offset:16
	global_load_dword v35, v35, s[8:9] offset:32
	s_waitcnt vmcnt(2)
	v_mul_f16_sdwa v34, v7, v26 dst_sel:DWORD dst_unused:UNUSED_PAD src0_sel:DWORD src1_sel:WORD_1
	v_mul_f16_sdwa v37, v9, v28 dst_sel:DWORD dst_unused:UNUSED_PAD src0_sel:DWORD src1_sel:WORD_1
	s_waitcnt vmcnt(1)
	v_mul_f16_sdwa v38, v11, v32 dst_sel:DWORD dst_unused:UNUSED_PAD src0_sel:DWORD src1_sel:WORD_1
	v_mul_f16_sdwa v39, v13, v30 dst_sel:DWORD dst_unused:UNUSED_PAD src0_sel:DWORD src1_sel:WORD_1
	;; [unrolled: 1-line block ×5, first 2 shown]
	s_waitcnt vmcnt(0)
	v_mul_f16_sdwa v46, v19, v35 dst_sel:DWORD dst_unused:UNUSED_PAD src0_sel:DWORD src1_sel:WORD_1
	v_mul_f16_sdwa v47, v23, v31 dst_sel:DWORD dst_unused:UNUSED_PAD src0_sel:DWORD src1_sel:WORD_1
	;; [unrolled: 1-line block ×11, first 2 shown]
	v_fma_f16 v18, v18, v26, -v34
	v_fma_f16 v21, v21, v28, -v37
	;; [unrolled: 1-line block ×4, first 2 shown]
	v_fmac_f16_e32 v42, v9, v28
	v_fmac_f16_e32 v44, v8, v27
	;; [unrolled: 1-line block ×5, first 2 shown]
	v_fma_f16 v8, v22, v29, -v51
	v_fma_f16 v9, v23, v31, -v52
	v_fmac_f16_e32 v40, v7, v26
	v_fmac_f16_e32 v48, v6, v25
	v_fma_f16 v6, v16, v27, -v49
	v_fma_f16 v7, v19, v35, -v50
	v_fmac_f16_e32 v41, v11, v32
	v_fmac_f16_e32 v43, v13, v30
	v_fma_f16 v10, v17, v25, -v53
	v_sub_f16_e32 v11, v18, v21
	v_sub_f16_e32 v12, v20, v24
	v_add_f16_e32 v13, v21, v24
	v_sub_f16_e32 v17, v44, v45
	v_sub_f16_e32 v19, v46, v47
	v_add_f16_e32 v22, v45, v47
	v_add_f16_e32 v28, v8, v9
	;; [unrolled: 1-line block ×3, first 2 shown]
	v_sub_f16_e32 v14, v40, v41
	v_sub_f16_e32 v26, v6, v8
	;; [unrolled: 1-line block ×4, first 2 shown]
	v_add_f16_e32 v34, v18, v20
	v_sub_f16_e32 v52, v40, v42
	v_sub_f16_e32 v56, v42, v40
	v_add_f16_e32 v58, v40, v41
	v_add_f16_e32 v40, v5, v40
	;; [unrolled: 1-line block ×3, first 2 shown]
	v_fma_f16 v12, -0.5, v13, v36
	v_add_f16_e32 v13, v17, v19
	v_fma_f16 v17, -0.5, v22, v48
	v_fma_f16 v22, -0.5, v28, v10
	v_sub_f16_e32 v23, v6, v7
	v_sub_f16_e32 v30, v45, v47
	;; [unrolled: 1-line block ×6, first 2 shown]
	v_add_f16_e32 v38, v44, v46
	v_sub_f16_e32 v39, v8, v6
	v_add_f16_e32 v51, v36, v18
	v_add_f16_e32 v6, v10, v6
	v_add_f16_e32 v54, v42, v43
	v_add_f16_e32 v44, v48, v44
	v_fma_f16 v10, -0.5, v50, v10
	v_sub_f16_e32 v49, v9, v7
	v_add_f16_e32 v19, v26, v27
	v_fma_f16 v27, -0.5, v34, v36
	v_add_f16_e32 v36, v40, v42
	v_fmamk_f16 v40, v29, 0xbb9c, v22
	v_fmac_f16_e32 v22, 0x3b9c, v29
	v_sub_f16_e32 v16, v42, v43
	v_sub_f16_e32 v25, v8, v9
	v_sub_f16_e32 v18, v18, v20
	v_sub_f16_e32 v55, v21, v24
	v_add_f16_e32 v26, v31, v32
	v_add_f16_e32 v28, v35, v37
	v_fma_f16 v31, -0.5, v38, v48
	v_add_f16_e32 v21, v51, v21
	v_add_f16_e32 v6, v6, v8
	v_fma_f16 v34, -0.5, v54, v5
	v_add_f16_e32 v37, v44, v45
	v_fmamk_f16 v45, v30, 0x3b9c, v10
	v_fmac_f16_e32 v10, 0xbb9c, v30
	v_add_f16_e32 v32, v39, v49
	v_fma_f16 v5, -0.5, v58, v5
	v_fmamk_f16 v39, v23, 0x3b9c, v17
	v_fmac_f16_e32 v17, 0xbb9c, v23
	v_fmac_f16_e32 v22, 0x38b4, v30
	v_sub_f16_e32 v53, v41, v43
	v_fmamk_f16 v38, v14, 0xbb9c, v12
	v_fmamk_f16 v42, v16, 0x3b9c, v27
	;; [unrolled: 1-line block ×3, first 2 shown]
	v_fmac_f16_e32 v27, 0xbb9c, v16
	v_fmac_f16_e32 v31, 0x3b9c, v25
	;; [unrolled: 1-line block ×3, first 2 shown]
	v_add_f16_e32 v21, v21, v24
	v_add_f16_e32 v6, v6, v9
	v_fmamk_f16 v9, v18, 0x3b9c, v34
	v_fmac_f16_e32 v34, 0xbb9c, v18
	v_add_f16_e32 v36, v36, v43
	v_add_f16_e32 v37, v37, v47
	v_fmac_f16_e32 v45, 0xb8b4, v29
	v_fmac_f16_e32 v10, 0x38b4, v29
	;; [unrolled: 1-line block ×3, first 2 shown]
	v_fmamk_f16 v24, v55, 0xbb9c, v5
	v_fmac_f16_e32 v5, 0x3b9c, v55
	v_fmac_f16_e32 v17, 0xb8b4, v25
	;; [unrolled: 1-line block ×3, first 2 shown]
	v_sub_f16_e32 v57, v43, v41
	v_add_f16_e32 v8, v52, v53
	v_fmac_f16_e32 v38, 0xb8b4, v16
	v_fmac_f16_e32 v42, 0xb8b4, v14
	;; [unrolled: 1-line block ×6, first 2 shown]
	v_add_f16_e32 v14, v21, v20
	v_add_f16_e32 v6, v6, v7
	v_fmac_f16_e32 v9, 0x38b4, v55
	v_fmac_f16_e32 v34, 0xb8b4, v55
	v_add_f16_e32 v7, v36, v41
	v_add_f16_e32 v16, v37, v46
	v_fmac_f16_e32 v45, 0x34f2, v32
	v_fmac_f16_e32 v10, 0x34f2, v32
	;; [unrolled: 1-line block ×7, first 2 shown]
	v_mul_f16_e32 v18, 0x3a79, v22
	v_mul_f16_e32 v21, 0xb8b4, v22
	v_add_f16_e32 v35, v56, v57
	v_fmac_f16_e32 v38, 0x34f2, v11
	v_fmac_f16_e32 v44, 0x34f2, v28
	;; [unrolled: 1-line block ×4, first 2 shown]
	v_sub_f16_e32 v11, v14, v6
	v_fmac_f16_e32 v9, 0x34f2, v8
	v_fmac_f16_e32 v34, 0x34f2, v8
	v_sub_f16_e32 v8, v7, v16
	v_add_f16_e32 v6, v14, v6
	v_add_f16_e32 v7, v7, v16
	v_mul_f16_e32 v14, 0xb4f2, v45
	v_mul_f16_e32 v16, 0x34f2, v10
	;; [unrolled: 1-line block ×4, first 2 shown]
	v_fmac_f16_e32 v39, 0x34f2, v13
	v_mul_f16_e32 v13, 0xba79, v40
	v_mul_f16_e32 v19, 0xb8b4, v40
	v_fmac_f16_e32 v18, 0x38b4, v17
	v_fmac_f16_e32 v21, 0x3a79, v17
	;; [unrolled: 1-line block ×12, first 2 shown]
	v_sub_f16_e32 v22, v12, v18
	v_add_f16_e32 v12, v12, v18
	v_add_f16_e32 v18, v34, v21
	v_pack_b32_f16 v6, v7, v6
	v_pack_b32_f16 v7, v8, v11
	v_sub_f16_e32 v11, v42, v14
	v_sub_f16_e32 v17, v27, v16
	;; [unrolled: 1-line block ×3, first 2 shown]
	v_add_f16_e32 v14, v42, v14
	v_add_f16_e32 v16, v27, v16
	v_add_f16_e32 v5, v5, v10
	v_add_f16_e32 v10, v24, v20
	v_sub_f16_e32 v8, v38, v13
	v_sub_f16_e32 v23, v9, v19
	v_add_f16_e32 v13, v38, v13
	v_add_f16_e32 v9, v9, v19
	v_sub_f16_e32 v19, v34, v21
	v_sub_f16_e32 v25, v24, v20
	v_pack_b32_f16 v12, v18, v12
	v_pack_b32_f16 v5, v5, v16
	;; [unrolled: 1-line block ×8, first 2 shown]
	ds_write2_b32 v33, v6, v12 offset1:5
	ds_write2_b32 v33, v5, v10 offset0:10 offset1:15
	ds_write2_b32 v33, v9, v7 offset0:20 offset1:25
	ds_write2_b32 v33, v13, v14 offset0:30 offset1:35
	ds_write2_b32 v33, v11, v8 offset0:40 offset1:45
.LBB0_23:
	s_or_b32 exec_lo, exec_lo, s1
	v_mul_lo_u16 v1, v1, 41
	v_mov_b32_e32 v6, 4
	s_waitcnt lgkmcnt(0)
	s_barrier
	buffer_gl0_inv
	v_lshrrev_b16 v1, 11, v1
	v_add_nc_u32_e32 v18, 0x7c0, v15
	v_mov_b32_e32 v20, 0x3e8
	v_mov_b32_e32 v21, 2
	v_mul_lo_u16 v5, v1, 50
	v_mul_u32_u24_sdwa v1, v1, v20 dst_sel:DWORD dst_unused:UNUSED_PAD src0_sel:WORD_0 src1_sel:DWORD
	v_sub_nc_u16 v14, v0, v5
	v_lshlrev_b32_sdwa v5, v6, v14 dst_sel:DWORD dst_unused:UNUSED_PAD src0_sel:DWORD src1_sel:BYTE_0
	v_lshlrev_b32_sdwa v14, v21, v14 dst_sel:DWORD dst_unused:UNUSED_PAD src0_sel:DWORD src1_sel:BYTE_0
	global_load_dwordx4 v[6:9], v5, s[8:9] offset:180
	ds_read2_b32 v[10:11], v15 offset1:250
	ds_read_b32 v19, v15 offset:4000
	ds_read2_b32 v[12:13], v18 offset0:4 offset1:254
	v_mov_b32_e32 v5, 0
	v_add3_u32 v1, 0, v1, v14
	v_lshlrev_b64 v[16:17], 2, v[4:5]
	ds_read_u16 v4, v15 offset:2
	s_waitcnt vmcnt(0) lgkmcnt(0)
	s_barrier
	buffer_gl0_inv
	v_add_co_u32 v16, s0, s8, v16
	v_add_co_ci_u32_e64 v17, s0, s9, v17, s0
	v_lshrrev_b32_e32 v20, 16, v11
	v_lshrrev_b32_e32 v21, 16, v19
	;; [unrolled: 1-line block ×4, first 2 shown]
	v_mul_f16_sdwa v14, v6, v20 dst_sel:DWORD dst_unused:UNUSED_PAD src0_sel:WORD_1 src1_sel:DWORD
	v_mul_f16_sdwa v24, v6, v11 dst_sel:DWORD dst_unused:UNUSED_PAD src0_sel:WORD_1 src1_sel:DWORD
	;; [unrolled: 1-line block ×8, first 2 shown]
	v_fmac_f16_e32 v14, v6, v11
	v_fma_f16 v6, v6, v20, -v24
	v_fmac_f16_e32 v25, v7, v12
	v_fma_f16 v7, v7, v22, -v26
	;; [unrolled: 2-line block ×4, first 2 shown]
	v_add_f16_e32 v26, v4, v6
	v_add_f16_e32 v12, v25, v27
	;; [unrolled: 1-line block ×6, first 2 shown]
	v_sub_f16_e32 v13, v6, v11
	v_sub_f16_e32 v19, v7, v8
	v_sub_f16_e32 v20, v14, v25
	v_sub_f16_e32 v21, v29, v27
	v_sub_f16_e32 v23, v25, v14
	v_sub_f16_e32 v24, v27, v29
	v_sub_f16_e32 v14, v14, v29
	v_sub_f16_e32 v31, v6, v7
	v_sub_f16_e32 v6, v7, v6
	v_fma_f16 v12, -0.5, v12, v10
	v_fmac_f16_e32 v10, -0.5, v22
	v_add_f16_e32 v7, v26, v7
	v_fma_f16 v22, -0.5, v28, v4
	v_sub_f16_e32 v30, v25, v27
	v_fmac_f16_e32 v4, -0.5, v33
	v_sub_f16_e32 v32, v11, v8
	v_sub_f16_e32 v34, v8, v11
	v_add_f16_e32 v9, v9, v25
	v_add_f16_e32 v20, v20, v21
	;; [unrolled: 1-line block ×3, first 2 shown]
	v_fmamk_f16 v24, v13, 0xbb9c, v12
	v_add_f16_e32 v7, v7, v8
	v_fmamk_f16 v8, v14, 0x3b9c, v22
	v_fmamk_f16 v25, v19, 0x3b9c, v10
	v_fmac_f16_e32 v10, 0xbb9c, v19
	v_fmamk_f16 v26, v30, 0xbb9c, v4
	v_fmac_f16_e32 v4, 0x3b9c, v30
	v_fmac_f16_e32 v12, 0x3b9c, v13
	;; [unrolled: 1-line block ×3, first 2 shown]
	v_add_f16_e32 v23, v31, v32
	v_add_f16_e32 v9, v9, v27
	v_fmac_f16_e32 v24, 0xb8b4, v19
	v_fmac_f16_e32 v8, 0x38b4, v30
	v_add_f16_e32 v6, v6, v34
	v_fmac_f16_e32 v25, 0xb8b4, v13
	v_fmac_f16_e32 v10, 0x38b4, v13
	;; [unrolled: 1-line block ×6, first 2 shown]
	v_add_f16_e32 v9, v9, v29
	v_add_f16_e32 v7, v7, v11
	v_fmac_f16_e32 v24, 0x34f2, v20
	v_fmac_f16_e32 v8, 0x34f2, v23
	;; [unrolled: 1-line block ×8, first 2 shown]
	v_pack_b32_f16 v6, v9, v7
	v_pack_b32_f16 v7, v24, v8
	;; [unrolled: 1-line block ×5, first 2 shown]
	ds_write2_b32 v1, v6, v7 offset1:50
	ds_write2_b32 v1, v8, v4 offset0:100 offset1:150
	ds_write_b32 v1, v9 offset:800
	s_waitcnt lgkmcnt(0)
	s_barrier
	buffer_gl0_inv
	global_load_dwordx4 v[6:9], v[16:17], off offset:980
	ds_read2_b32 v[10:11], v15 offset1:250
	ds_read2_b32 v[12:13], v18 offset0:4 offset1:254
	ds_read_b32 v1, v15 offset:4000
	ds_read_u16 v4, v15 offset:2
	s_waitcnt vmcnt(0) lgkmcnt(0)
	s_barrier
	buffer_gl0_inv
	v_lshrrev_b32_e32 v14, 16, v11
	v_lshrrev_b32_e32 v16, 16, v12
	;; [unrolled: 1-line block ×4, first 2 shown]
	v_mul_f16_sdwa v20, v6, v14 dst_sel:DWORD dst_unused:UNUSED_PAD src0_sel:WORD_1 src1_sel:DWORD
	v_mul_f16_sdwa v21, v6, v11 dst_sel:DWORD dst_unused:UNUSED_PAD src0_sel:WORD_1 src1_sel:DWORD
	;; [unrolled: 1-line block ×8, first 2 shown]
	v_fmac_f16_e32 v20, v6, v11
	v_fma_f16 v6, v6, v14, -v21
	v_fmac_f16_e32 v22, v7, v12
	v_fma_f16 v7, v7, v16, -v23
	;; [unrolled: 2-line block ×4, first 2 shown]
	v_add_f16_e32 v23, v4, v6
	v_add_f16_e32 v9, v22, v24
	v_add_f16_e32 v25, v7, v8
	v_add_f16_e32 v17, v20, v26
	v_add_f16_e32 v30, v6, v11
	v_add_f16_e32 v1, v20, v10
	v_sub_f16_e32 v12, v6, v11
	v_sub_f16_e32 v13, v7, v8
	;; [unrolled: 1-line block ×9, first 2 shown]
	v_fma_f16 v9, -0.5, v9, v10
	v_fmac_f16_e32 v10, -0.5, v17
	v_add_f16_e32 v7, v23, v7
	v_fma_f16 v17, -0.5, v25, v4
	v_sub_f16_e32 v27, v22, v24
	v_fmac_f16_e32 v4, -0.5, v30
	v_sub_f16_e32 v29, v11, v8
	v_sub_f16_e32 v31, v8, v11
	v_add_f16_e32 v1, v1, v22
	v_add_f16_e32 v14, v14, v16
	;; [unrolled: 1-line block ×3, first 2 shown]
	v_fmamk_f16 v21, v12, 0xbb9c, v9
	v_add_f16_e32 v7, v7, v8
	v_fmamk_f16 v8, v20, 0x3b9c, v17
	v_fmamk_f16 v22, v13, 0x3b9c, v10
	v_fmac_f16_e32 v10, 0xbb9c, v13
	v_fmamk_f16 v23, v27, 0xbb9c, v4
	v_fmac_f16_e32 v4, 0x3b9c, v27
	v_fmac_f16_e32 v9, 0x3b9c, v12
	;; [unrolled: 1-line block ×3, first 2 shown]
	v_add_f16_e32 v19, v28, v29
	v_add_f16_e32 v1, v1, v24
	v_fmac_f16_e32 v21, 0xb8b4, v13
	v_fmac_f16_e32 v8, 0x38b4, v27
	v_add_f16_e32 v6, v6, v31
	v_fmac_f16_e32 v22, 0xb8b4, v12
	v_fmac_f16_e32 v10, 0x38b4, v12
	;; [unrolled: 1-line block ×6, first 2 shown]
	v_add_f16_e32 v1, v1, v26
	v_add_f16_e32 v7, v7, v11
	v_fmac_f16_e32 v21, 0x34f2, v14
	v_fmac_f16_e32 v8, 0x34f2, v19
	;; [unrolled: 1-line block ×8, first 2 shown]
	v_pack_b32_f16 v1, v1, v7
	v_pack_b32_f16 v6, v21, v8
	;; [unrolled: 1-line block ×5, first 2 shown]
	ds_write2_b32 v15, v1, v6 offset1:250
	ds_write2_b32 v18, v7, v4 offset0:4 offset1:254
	ds_write_b32 v15, v8 offset:4000
	s_waitcnt lgkmcnt(0)
	s_barrier
	buffer_gl0_inv
	s_and_saveexec_b32 s0, vcc_lo
	s_cbranch_execz .LBB0_25
; %bb.24:
	v_mov_b32_e32 v1, v5
	v_add_nc_u32_e32 v4, 0xfa, v0
	v_lshl_add_u32 v14, v0, 2, 0
	v_add_co_u32 v16, vcc_lo, s2, v2
	v_lshlrev_b64 v[8:9], 2, v[0:1]
	v_lshlrev_b64 v[1:2], 2, v[4:5]
	v_add_nc_u32_e32 v4, 0x1f4, v0
	v_add_co_ci_u32_e32 v17, vcc_lo, s3, v3, vcc_lo
	v_add_nc_u32_e32 v3, 0x7c0, v14
	ds_read2_b32 v[6:7], v14 offset1:250
	v_lshlrev_b64 v[12:13], 2, v[4:5]
	v_add_nc_u32_e32 v4, 0x2ee, v0
	ds_read_b32 v18, v14 offset:4000
	ds_read2_b32 v[10:11], v3 offset0:4 offset1:254
	v_add_co_u32 v8, vcc_lo, v16, v8
	v_lshlrev_b64 v[14:15], 2, v[4:5]
	v_add_nc_u32_e32 v4, 0x3e8, v0
	v_add_co_ci_u32_e32 v9, vcc_lo, v17, v9, vcc_lo
	v_add_co_u32 v1, vcc_lo, v16, v1
	v_add_co_ci_u32_e32 v2, vcc_lo, v17, v2, vcc_lo
	v_add_co_u32 v12, vcc_lo, v16, v12
	v_lshlrev_b64 v[3:4], 2, v[4:5]
	v_add_co_ci_u32_e32 v13, vcc_lo, v17, v13, vcc_lo
	v_add_co_u32 v14, vcc_lo, v16, v14
	v_add_co_ci_u32_e32 v15, vcc_lo, v17, v15, vcc_lo
	v_add_co_u32 v3, vcc_lo, v16, v3
	v_add_co_ci_u32_e32 v4, vcc_lo, v17, v4, vcc_lo
	s_waitcnt lgkmcnt(2)
	global_store_dword v[8:9], v6, off
	global_store_dword v[1:2], v7, off
	s_waitcnt lgkmcnt(0)
	global_store_dword v[12:13], v10, off
	global_store_dword v[14:15], v11, off
	;; [unrolled: 1-line block ×3, first 2 shown]
.LBB0_25:
	s_endpgm
	.section	.rodata,"a",@progbits
	.p2align	6, 0x0
	.amdhsa_kernel fft_rtc_back_len1250_factors_5_10_5_5_wgs_250_tpt_250_halfLds_half_ip_CI_unitstride_sbrr_C2R_dirReg
		.amdhsa_group_segment_fixed_size 0
		.amdhsa_private_segment_fixed_size 0
		.amdhsa_kernarg_size 88
		.amdhsa_user_sgpr_count 6
		.amdhsa_user_sgpr_private_segment_buffer 1
		.amdhsa_user_sgpr_dispatch_ptr 0
		.amdhsa_user_sgpr_queue_ptr 0
		.amdhsa_user_sgpr_kernarg_segment_ptr 1
		.amdhsa_user_sgpr_dispatch_id 0
		.amdhsa_user_sgpr_flat_scratch_init 0
		.amdhsa_user_sgpr_private_segment_size 0
		.amdhsa_wavefront_size32 1
		.amdhsa_uses_dynamic_stack 0
		.amdhsa_system_sgpr_private_segment_wavefront_offset 0
		.amdhsa_system_sgpr_workgroup_id_x 1
		.amdhsa_system_sgpr_workgroup_id_y 0
		.amdhsa_system_sgpr_workgroup_id_z 0
		.amdhsa_system_sgpr_workgroup_info 0
		.amdhsa_system_vgpr_workitem_id 0
		.amdhsa_next_free_vgpr 59
		.amdhsa_next_free_sgpr 21
		.amdhsa_reserve_vcc 1
		.amdhsa_reserve_flat_scratch 0
		.amdhsa_float_round_mode_32 0
		.amdhsa_float_round_mode_16_64 0
		.amdhsa_float_denorm_mode_32 3
		.amdhsa_float_denorm_mode_16_64 3
		.amdhsa_dx10_clamp 1
		.amdhsa_ieee_mode 1
		.amdhsa_fp16_overflow 0
		.amdhsa_workgroup_processor_mode 1
		.amdhsa_memory_ordered 1
		.amdhsa_forward_progress 0
		.amdhsa_shared_vgpr_count 0
		.amdhsa_exception_fp_ieee_invalid_op 0
		.amdhsa_exception_fp_denorm_src 0
		.amdhsa_exception_fp_ieee_div_zero 0
		.amdhsa_exception_fp_ieee_overflow 0
		.amdhsa_exception_fp_ieee_underflow 0
		.amdhsa_exception_fp_ieee_inexact 0
		.amdhsa_exception_int_div_zero 0
	.end_amdhsa_kernel
	.text
.Lfunc_end0:
	.size	fft_rtc_back_len1250_factors_5_10_5_5_wgs_250_tpt_250_halfLds_half_ip_CI_unitstride_sbrr_C2R_dirReg, .Lfunc_end0-fft_rtc_back_len1250_factors_5_10_5_5_wgs_250_tpt_250_halfLds_half_ip_CI_unitstride_sbrr_C2R_dirReg
                                        ; -- End function
	.section	.AMDGPU.csdata,"",@progbits
; Kernel info:
; codeLenInByte = 5632
; NumSgprs: 23
; NumVgprs: 59
; ScratchSize: 0
; MemoryBound: 0
; FloatMode: 240
; IeeeMode: 1
; LDSByteSize: 0 bytes/workgroup (compile time only)
; SGPRBlocks: 2
; VGPRBlocks: 7
; NumSGPRsForWavesPerEU: 23
; NumVGPRsForWavesPerEU: 59
; Occupancy: 16
; WaveLimiterHint : 1
; COMPUTE_PGM_RSRC2:SCRATCH_EN: 0
; COMPUTE_PGM_RSRC2:USER_SGPR: 6
; COMPUTE_PGM_RSRC2:TRAP_HANDLER: 0
; COMPUTE_PGM_RSRC2:TGID_X_EN: 1
; COMPUTE_PGM_RSRC2:TGID_Y_EN: 0
; COMPUTE_PGM_RSRC2:TGID_Z_EN: 0
; COMPUTE_PGM_RSRC2:TIDIG_COMP_CNT: 0
	.text
	.p2alignl 6, 3214868480
	.fill 48, 4, 3214868480
	.type	__hip_cuid_bddced720240961f,@object ; @__hip_cuid_bddced720240961f
	.section	.bss,"aw",@nobits
	.globl	__hip_cuid_bddced720240961f
__hip_cuid_bddced720240961f:
	.byte	0                               ; 0x0
	.size	__hip_cuid_bddced720240961f, 1

	.ident	"AMD clang version 19.0.0git (https://github.com/RadeonOpenCompute/llvm-project roc-6.4.0 25133 c7fe45cf4b819c5991fe208aaa96edf142730f1d)"
	.section	".note.GNU-stack","",@progbits
	.addrsig
	.addrsig_sym __hip_cuid_bddced720240961f
	.amdgpu_metadata
---
amdhsa.kernels:
  - .args:
      - .actual_access:  read_only
        .address_space:  global
        .offset:         0
        .size:           8
        .value_kind:     global_buffer
      - .offset:         8
        .size:           8
        .value_kind:     by_value
      - .actual_access:  read_only
        .address_space:  global
        .offset:         16
        .size:           8
        .value_kind:     global_buffer
      - .actual_access:  read_only
        .address_space:  global
        .offset:         24
        .size:           8
        .value_kind:     global_buffer
      - .offset:         32
        .size:           8
        .value_kind:     by_value
      - .actual_access:  read_only
        .address_space:  global
        .offset:         40
        .size:           8
        .value_kind:     global_buffer
      - .actual_access:  read_only
        .address_space:  global
        .offset:         48
        .size:           8
        .value_kind:     global_buffer
      - .offset:         56
        .size:           4
        .value_kind:     by_value
      - .actual_access:  read_only
        .address_space:  global
        .offset:         64
        .size:           8
        .value_kind:     global_buffer
      - .actual_access:  read_only
        .address_space:  global
        .offset:         72
        .size:           8
        .value_kind:     global_buffer
      - .address_space:  global
        .offset:         80
        .size:           8
        .value_kind:     global_buffer
    .group_segment_fixed_size: 0
    .kernarg_segment_align: 8
    .kernarg_segment_size: 88
    .language:       OpenCL C
    .language_version:
      - 2
      - 0
    .max_flat_workgroup_size: 250
    .name:           fft_rtc_back_len1250_factors_5_10_5_5_wgs_250_tpt_250_halfLds_half_ip_CI_unitstride_sbrr_C2R_dirReg
    .private_segment_fixed_size: 0
    .sgpr_count:     23
    .sgpr_spill_count: 0
    .symbol:         fft_rtc_back_len1250_factors_5_10_5_5_wgs_250_tpt_250_halfLds_half_ip_CI_unitstride_sbrr_C2R_dirReg.kd
    .uniform_work_group_size: 1
    .uses_dynamic_stack: false
    .vgpr_count:     59
    .vgpr_spill_count: 0
    .wavefront_size: 32
    .workgroup_processor_mode: 1
amdhsa.target:   amdgcn-amd-amdhsa--gfx1030
amdhsa.version:
  - 1
  - 2
...

	.end_amdgpu_metadata
